;; amdgpu-corpus repo=llvm/llvm-project kind=harvested arch=n/a opt=n/a
// NOTE: Assertions have been autogenerated by utils/update_mc_test_checks.py UTC_ARGS: --version 6
// RUN: llvm-mc -triple=amdgcn -mcpu=gfx1310 -show-encoding < %s | FileCheck -check-prefix=GFX13 %s

s_ff1_i32_b32 s0, s0
// GFX13: s_ctz_i32_b32 s0, s0                    ; encoding: [0x00,0x13,0x80,0xbe]

s_ff1_i32_b64 s0, s[0:1]
// GFX13: s_ctz_i32_b64 s0, s[0:1]                ; encoding: [0x00,0x14,0x80,0xbe]

s_flbit_i32_b32 s0, s0
// GFX13: s_clz_i32_u32 s0, s0                    ; encoding: [0x00,0x15,0x80,0xbe]

s_flbit_i32_b64 s0, s[0:1]
// GFX13: s_clz_i32_u64 s0, s[0:1]                ; encoding: [0x00,0x16,0x80,0xbe]

s_flbit_i32 s0, s0
// GFX13: s_cls_i32 s0, s0                        ; encoding: [0x00,0x17,0x80,0xbe]

s_flbit_i32_i64 s0, s[0:1]
// GFX13: s_cls_i32_i64 s0, s[0:1]                ; encoding: [0x00,0x18,0x80,0xbe]

s_getpc_b64 s[0:1]
// GFX13: s_get_pc_i64 s[0:1]                     ; encoding: [0x00,0x1f,0x80,0xbe]

s_setpc_b64 s[0:1]
// GFX13: s_set_pc_i64 s[0:1]                     ; encoding: [0x00,0x20,0x80,0xbe]

s_swappc_b64 s[0:1], s[0:1]
// GFX13: s_swap_pc_i64 s[0:1], s[0:1]            ; encoding: [0x00,0x21,0x80,0xbe]

s_rfe_b64 s[0:1]
// GFX13: s_rfe_i64 s[0:1]                        ; encoding: [0x00,0x22,0x80,0xbe]

s_andn2_saveexec_b64 s[0:1], s[0:1]
// GFX13: s_and_not1_saveexec_b64 s[0:1], s[0:1]  ; encoding: [0x00,0x27,0x80,0xbe]

s_orn2_saveexec_b64 s[0:1], s[0:1]
// GFX13: s_or_not1_saveexec_b64 s[0:1], s[0:1]   ; encoding: [0x00,0x28,0x80,0xbe]

s_andn1_saveexec_b64 s[0:1], s[0:1]
// GFX13: s_and_not0_saveexec_b64 s[0:1], s[0:1]  ; encoding: [0x00,0x37,0x80,0xbe]

s_orn1_saveexec_b64 s[0:1], s[0:1]
// GFX13: s_or_not0_saveexec_b64 s[0:1], s[0:1]   ; encoding: [0x00,0x38,0x80,0xbe]

s_andn1_wrexec_b64 s[0:1], s[0:1]
// GFX13: s_and_not0_wrexec_b64 s[0:1], s[0:1]    ; encoding: [0x00,0x39,0x80,0xbe]

s_andn2_wrexec_b64 s[0:1], s[0:1]
// GFX13: s_and_not1_wrexec_b64 s[0:1], s[0:1]    ; encoding: [0x00,0x3a,0x80,0xbe]

s_andn2_saveexec_b32 s0, s0
// GFX13: s_and_not1_saveexec_b32 s0, s0          ; encoding: [0x00,0x3f,0x80,0xbe]

s_orn2_saveexec_b32 s0, s0
// GFX13: s_or_not1_saveexec_b32 s0, s0           ; encoding: [0x00,0x40,0x80,0xbe]

s_andn1_saveexec_b32 s0, s0
// GFX13: s_and_not0_saveexec_b32 s0, s0          ; encoding: [0x00,0x44,0x80,0xbe]

s_orn1_saveexec_b32 s0, s0
// GFX13: s_or_not0_saveexec_b32 s0, s0           ; encoding: [0x00,0x45,0x80,0xbe]

s_andn1_wrexec_b32 s0, s0
// GFX13: s_and_not0_wrexec_b32 s0, s0            ; encoding: [0x00,0x46,0x80,0xbe]

s_andn2_wrexec_b32 s0, s0
// GFX13: s_and_not1_wrexec_b32 s0, s0            ; encoding: [0x00,0x47,0x80,0xbe]

